;; amdgpu-corpus repo=ROCm/rocFFT kind=compiled arch=gfx1030 opt=O3
	.text
	.amdgcn_target "amdgcn-amd-amdhsa--gfx1030"
	.amdhsa_code_object_version 6
	.protected	fft_rtc_back_len320_factors_10_4_4_2_wgs_64_tpt_16_halfLds_dp_ip_CI_sbrr_dirReg ; -- Begin function fft_rtc_back_len320_factors_10_4_4_2_wgs_64_tpt_16_halfLds_dp_ip_CI_sbrr_dirReg
	.globl	fft_rtc_back_len320_factors_10_4_4_2_wgs_64_tpt_16_halfLds_dp_ip_CI_sbrr_dirReg
	.p2align	8
	.type	fft_rtc_back_len320_factors_10_4_4_2_wgs_64_tpt_16_halfLds_dp_ip_CI_sbrr_dirReg,@function
fft_rtc_back_len320_factors_10_4_4_2_wgs_64_tpt_16_halfLds_dp_ip_CI_sbrr_dirReg: ; @fft_rtc_back_len320_factors_10_4_4_2_wgs_64_tpt_16_halfLds_dp_ip_CI_sbrr_dirReg
; %bb.0:
	s_clause 0x2
	s_load_dwordx2 s[14:15], s[4:5], 0x18
	s_load_dwordx4 s[8:11], s[4:5], 0x0
	s_load_dwordx2 s[12:13], s[4:5], 0x50
	v_lshrrev_b32_e32 v83, 4, v0
	v_mov_b32_e32 v3, 0
	v_mov_b32_e32 v1, 0
	;; [unrolled: 1-line block ×3, first 2 shown]
	v_lshl_or_b32 v5, s6, 2, v83
	v_mov_b32_e32 v6, v3
	s_waitcnt lgkmcnt(0)
	s_load_dwordx2 s[2:3], s[14:15], 0x0
	v_cmp_lt_u64_e64 s0, s[10:11], 2
	s_and_b32 vcc_lo, exec_lo, s0
	s_cbranch_vccnz .LBB0_8
; %bb.1:
	s_load_dwordx2 s[0:1], s[4:5], 0x10
	v_mov_b32_e32 v1, 0
	s_add_u32 s6, s14, 8
	v_mov_b32_e32 v2, 0
	s_addc_u32 s7, s15, 0
	s_mov_b64 s[18:19], 1
	s_waitcnt lgkmcnt(0)
	s_add_u32 s16, s0, 8
	s_addc_u32 s17, s1, 0
.LBB0_2:                                ; =>This Inner Loop Header: Depth=1
	s_load_dwordx2 s[20:21], s[16:17], 0x0
                                        ; implicit-def: $vgpr7_vgpr8
	s_mov_b32 s0, exec_lo
	s_waitcnt lgkmcnt(0)
	v_or_b32_e32 v4, s21, v6
	v_cmpx_ne_u64_e32 0, v[3:4]
	s_xor_b32 s1, exec_lo, s0
	s_cbranch_execz .LBB0_4
; %bb.3:                                ;   in Loop: Header=BB0_2 Depth=1
	v_cvt_f32_u32_e32 v4, s20
	v_cvt_f32_u32_e32 v7, s21
	s_sub_u32 s0, 0, s20
	s_subb_u32 s22, 0, s21
	v_fmac_f32_e32 v4, 0x4f800000, v7
	v_rcp_f32_e32 v4, v4
	v_mul_f32_e32 v4, 0x5f7ffffc, v4
	v_mul_f32_e32 v7, 0x2f800000, v4
	v_trunc_f32_e32 v7, v7
	v_fmac_f32_e32 v4, 0xcf800000, v7
	v_cvt_u32_f32_e32 v7, v7
	v_cvt_u32_f32_e32 v4, v4
	v_mul_lo_u32 v8, s0, v7
	v_mul_hi_u32 v9, s0, v4
	v_mul_lo_u32 v10, s22, v4
	v_add_nc_u32_e32 v8, v9, v8
	v_mul_lo_u32 v9, s0, v4
	v_add_nc_u32_e32 v8, v8, v10
	v_mul_hi_u32 v10, v4, v9
	v_mul_lo_u32 v11, v4, v8
	v_mul_hi_u32 v12, v4, v8
	v_mul_hi_u32 v13, v7, v9
	v_mul_lo_u32 v9, v7, v9
	v_mul_hi_u32 v14, v7, v8
	v_mul_lo_u32 v8, v7, v8
	v_add_co_u32 v10, vcc_lo, v10, v11
	v_add_co_ci_u32_e32 v11, vcc_lo, 0, v12, vcc_lo
	v_add_co_u32 v9, vcc_lo, v10, v9
	v_add_co_ci_u32_e32 v9, vcc_lo, v11, v13, vcc_lo
	v_add_co_ci_u32_e32 v10, vcc_lo, 0, v14, vcc_lo
	v_add_co_u32 v8, vcc_lo, v9, v8
	v_add_co_ci_u32_e32 v9, vcc_lo, 0, v10, vcc_lo
	v_add_co_u32 v4, vcc_lo, v4, v8
	v_add_co_ci_u32_e32 v7, vcc_lo, v7, v9, vcc_lo
	v_mul_hi_u32 v8, s0, v4
	v_mul_lo_u32 v10, s22, v4
	v_mul_lo_u32 v9, s0, v7
	v_add_nc_u32_e32 v8, v8, v9
	v_mul_lo_u32 v9, s0, v4
	v_add_nc_u32_e32 v8, v8, v10
	v_mul_hi_u32 v10, v4, v9
	v_mul_lo_u32 v11, v4, v8
	v_mul_hi_u32 v12, v4, v8
	v_mul_hi_u32 v13, v7, v9
	v_mul_lo_u32 v9, v7, v9
	v_mul_hi_u32 v14, v7, v8
	v_mul_lo_u32 v8, v7, v8
	v_add_co_u32 v10, vcc_lo, v10, v11
	v_add_co_ci_u32_e32 v11, vcc_lo, 0, v12, vcc_lo
	v_add_co_u32 v9, vcc_lo, v10, v9
	v_add_co_ci_u32_e32 v9, vcc_lo, v11, v13, vcc_lo
	v_add_co_ci_u32_e32 v10, vcc_lo, 0, v14, vcc_lo
	v_add_co_u32 v8, vcc_lo, v9, v8
	v_add_co_ci_u32_e32 v9, vcc_lo, 0, v10, vcc_lo
	v_add_co_u32 v4, vcc_lo, v4, v8
	v_add_co_ci_u32_e32 v11, vcc_lo, v7, v9, vcc_lo
	v_mul_hi_u32 v13, v5, v4
	v_mad_u64_u32 v[9:10], null, v6, v4, 0
	v_mad_u64_u32 v[7:8], null, v5, v11, 0
	;; [unrolled: 1-line block ×3, first 2 shown]
	v_add_co_u32 v4, vcc_lo, v13, v7
	v_add_co_ci_u32_e32 v7, vcc_lo, 0, v8, vcc_lo
	v_add_co_u32 v4, vcc_lo, v4, v9
	v_add_co_ci_u32_e32 v4, vcc_lo, v7, v10, vcc_lo
	v_add_co_ci_u32_e32 v7, vcc_lo, 0, v12, vcc_lo
	v_add_co_u32 v4, vcc_lo, v4, v11
	v_add_co_ci_u32_e32 v9, vcc_lo, 0, v7, vcc_lo
	v_mul_lo_u32 v10, s21, v4
	v_mad_u64_u32 v[7:8], null, s20, v4, 0
	v_mul_lo_u32 v11, s20, v9
	v_sub_co_u32 v7, vcc_lo, v5, v7
	v_add3_u32 v8, v8, v11, v10
	v_sub_nc_u32_e32 v10, v6, v8
	v_subrev_co_ci_u32_e64 v10, s0, s21, v10, vcc_lo
	v_add_co_u32 v11, s0, v4, 2
	v_add_co_ci_u32_e64 v12, s0, 0, v9, s0
	v_sub_co_u32 v13, s0, v7, s20
	v_sub_co_ci_u32_e32 v8, vcc_lo, v6, v8, vcc_lo
	v_subrev_co_ci_u32_e64 v10, s0, 0, v10, s0
	v_cmp_le_u32_e32 vcc_lo, s20, v13
	v_cmp_eq_u32_e64 s0, s21, v8
	v_cndmask_b32_e64 v13, 0, -1, vcc_lo
	v_cmp_le_u32_e32 vcc_lo, s21, v10
	v_cndmask_b32_e64 v14, 0, -1, vcc_lo
	v_cmp_le_u32_e32 vcc_lo, s20, v7
	;; [unrolled: 2-line block ×3, first 2 shown]
	v_cndmask_b32_e64 v15, 0, -1, vcc_lo
	v_cmp_eq_u32_e32 vcc_lo, s21, v10
	v_cndmask_b32_e64 v7, v15, v7, s0
	v_cndmask_b32_e32 v10, v14, v13, vcc_lo
	v_add_co_u32 v13, vcc_lo, v4, 1
	v_add_co_ci_u32_e32 v14, vcc_lo, 0, v9, vcc_lo
	v_cmp_ne_u32_e32 vcc_lo, 0, v10
	v_cndmask_b32_e32 v8, v14, v12, vcc_lo
	v_cndmask_b32_e32 v10, v13, v11, vcc_lo
	v_cmp_ne_u32_e32 vcc_lo, 0, v7
	v_cndmask_b32_e32 v8, v9, v8, vcc_lo
	v_cndmask_b32_e32 v7, v4, v10, vcc_lo
.LBB0_4:                                ;   in Loop: Header=BB0_2 Depth=1
	s_andn2_saveexec_b32 s0, s1
	s_cbranch_execz .LBB0_6
; %bb.5:                                ;   in Loop: Header=BB0_2 Depth=1
	v_cvt_f32_u32_e32 v4, s20
	s_sub_i32 s1, 0, s20
	v_rcp_iflag_f32_e32 v4, v4
	v_mul_f32_e32 v4, 0x4f7ffffe, v4
	v_cvt_u32_f32_e32 v4, v4
	v_mul_lo_u32 v7, s1, v4
	v_mul_hi_u32 v7, v4, v7
	v_add_nc_u32_e32 v4, v4, v7
	v_mul_hi_u32 v4, v5, v4
	v_mul_lo_u32 v7, v4, s20
	v_add_nc_u32_e32 v8, 1, v4
	v_sub_nc_u32_e32 v7, v5, v7
	v_subrev_nc_u32_e32 v9, s20, v7
	v_cmp_le_u32_e32 vcc_lo, s20, v7
	v_cndmask_b32_e32 v7, v7, v9, vcc_lo
	v_cndmask_b32_e32 v4, v4, v8, vcc_lo
	v_cmp_le_u32_e32 vcc_lo, s20, v7
	v_add_nc_u32_e32 v8, 1, v4
	v_cndmask_b32_e32 v7, v4, v8, vcc_lo
	v_mov_b32_e32 v8, v3
.LBB0_6:                                ;   in Loop: Header=BB0_2 Depth=1
	s_or_b32 exec_lo, exec_lo, s0
	s_load_dwordx2 s[0:1], s[6:7], 0x0
	v_mul_lo_u32 v4, v8, s20
	v_mul_lo_u32 v11, v7, s21
	v_mad_u64_u32 v[9:10], null, v7, s20, 0
	s_add_u32 s18, s18, 1
	s_addc_u32 s19, s19, 0
	s_add_u32 s6, s6, 8
	s_addc_u32 s7, s7, 0
	;; [unrolled: 2-line block ×3, first 2 shown]
	v_add3_u32 v4, v10, v11, v4
	v_sub_co_u32 v5, vcc_lo, v5, v9
	v_sub_co_ci_u32_e32 v4, vcc_lo, v6, v4, vcc_lo
	s_waitcnt lgkmcnt(0)
	v_mul_lo_u32 v6, s1, v5
	v_mul_lo_u32 v4, s0, v4
	v_mad_u64_u32 v[1:2], null, s0, v5, v[1:2]
	v_cmp_ge_u64_e64 s0, s[18:19], s[10:11]
	s_and_b32 vcc_lo, exec_lo, s0
	v_add3_u32 v2, v6, v2, v4
	s_cbranch_vccnz .LBB0_9
; %bb.7:                                ;   in Loop: Header=BB0_2 Depth=1
	v_mov_b32_e32 v5, v7
	v_mov_b32_e32 v6, v8
	s_branch .LBB0_2
.LBB0_8:
	v_mov_b32_e32 v8, v6
	v_mov_b32_e32 v7, v5
.LBB0_9:
	s_lshl_b64 s[0:1], s[10:11], 3
	v_and_b32_e32 v115, 15, v0
	s_add_u32 s0, s14, s0
	s_addc_u32 s1, s15, s1
                                        ; implicit-def: $vgpr82
                                        ; implicit-def: $vgpr87
                                        ; implicit-def: $vgpr91
                                        ; implicit-def: $vgpr84
                                        ; implicit-def: $vgpr93
                                        ; implicit-def: $vgpr85
                                        ; implicit-def: $vgpr89
                                        ; implicit-def: $vgpr86
                                        ; implicit-def: $vgpr95
	s_load_dwordx2 s[0:1], s[0:1], 0x0
	s_load_dwordx2 s[4:5], s[4:5], 0x20
	v_or_b32_e32 v114, 16, v115
	v_or_b32_e32 v110, 0x50, v115
	;; [unrolled: 1-line block ×9, first 2 shown]
	s_waitcnt lgkmcnt(0)
	v_mul_lo_u32 v3, s0, v8
	v_mul_lo_u32 v4, s1, v7
	v_mad_u64_u32 v[0:1], null, s0, v7, v[1:2]
	v_cmp_gt_u64_e32 vcc_lo, s[4:5], v[7:8]
	v_cmp_le_u64_e64 s0, s[4:5], v[7:8]
	v_add3_u32 v1, v4, v1, v3
	s_and_saveexec_b32 s1, s0
	s_xor_b32 s0, exec_lo, s1
; %bb.10:
	v_or_b32_e32 v82, 16, v115
	v_or_b32_e32 v87, 0x50, v115
	;; [unrolled: 1-line block ×9, first 2 shown]
; %bb.11:
	s_or_saveexec_b32 s1, s0
	v_lshlrev_b64 v[80:81], 4, v[0:1]
	v_or_b32_e32 v126, 0xa0, v115
	v_or_b32_e32 v124, 0xc0, v115
	;; [unrolled: 1-line block ×10, first 2 shown]
                                        ; implicit-def: $vgpr42_vgpr43
                                        ; implicit-def: $vgpr78_vgpr79
                                        ; implicit-def: $vgpr66_vgpr67
                                        ; implicit-def: $vgpr50_vgpr51
                                        ; implicit-def: $vgpr38_vgpr39
                                        ; implicit-def: $vgpr6_vgpr7
                                        ; implicit-def: $vgpr18_vgpr19
                                        ; implicit-def: $vgpr58_vgpr59
                                        ; implicit-def: $vgpr14_vgpr15
                                        ; implicit-def: $vgpr30_vgpr31
                                        ; implicit-def: $vgpr10_vgpr11
                                        ; implicit-def: $vgpr34_vgpr35
                                        ; implicit-def: $vgpr22_vgpr23
                                        ; implicit-def: $vgpr62_vgpr63
                                        ; implicit-def: $vgpr26_vgpr27
                                        ; implicit-def: $vgpr46_vgpr47
                                        ; implicit-def: $vgpr54_vgpr55
                                        ; implicit-def: $vgpr70_vgpr71
                                        ; implicit-def: $vgpr74_vgpr75
                                        ; implicit-def: $vgpr2_vgpr3
	s_xor_b32 exec_lo, exec_lo, s1
	s_cbranch_execz .LBB0_13
; %bb.12:
	v_mad_u64_u32 v[0:1], null, s2, v115, 0
	v_mad_u64_u32 v[2:3], null, s2, v116, 0
	;; [unrolled: 1-line block ×3, first 2 shown]
	v_add_co_u32 v48, s0, s12, v80
	v_add_co_ci_u32_e64 v49, s0, s13, v81, s0
	v_mad_u64_u32 v[6:7], null, s3, v115, v[1:2]
	v_mad_u64_u32 v[7:8], null, s2, v109, 0
	v_mad_u64_u32 v[9:10], null, s3, v116, v[3:4]
	v_mad_u64_u32 v[10:11], null, s2, v112, 0
	v_mov_b32_e32 v1, v6
	v_mad_u64_u32 v[19:20], null, s2, v120, 0
	v_mov_b32_e32 v6, v8
	v_mov_b32_e32 v3, v9
	v_lshlrev_b64 v[0:1], 4, v[0:1]
	v_mad_u64_u32 v[24:25], null, s2, v114, 0
	v_mad_u64_u32 v[8:9], null, s3, v118, v[5:6]
	;; [unrolled: 1-line block ×3, first 2 shown]
	v_lshlrev_b64 v[2:3], 4, v[2:3]
	v_add_co_u32 v0, s0, v48, v0
	v_add_co_ci_u32_e64 v1, s0, v49, v1, s0
	v_mad_u64_u32 v[15:16], null, s2, v126, 0
	v_add_co_u32 v12, s0, v48, v2
	v_mov_b32_e32 v5, v8
	v_mov_b32_e32 v6, v11
	;; [unrolled: 1-line block ×3, first 2 shown]
	v_add_co_ci_u32_e64 v13, s0, v49, v3, s0
	s_clause 0x1
	global_load_dwordx4 v[0:3], v[0:1], off
	global_load_dwordx4 v[40:43], v[12:13], off
	v_mad_u64_u32 v[11:12], null, s3, v112, v[6:7]
	v_lshlrev_b64 v[7:8], 4, v[7:8]
	v_lshlrev_b64 v[4:5], 4, v[4:5]
	v_mov_b32_e32 v6, v16
	v_mad_u64_u32 v[12:13], null, s2, v124, 0
	v_mad_u64_u32 v[29:30], null, s2, v110, 0
	;; [unrolled: 1-line block ×3, first 2 shown]
	v_add_co_u32 v4, s0, v48, v4
	v_mad_u64_u32 v[17:18], null, s2, v122, 0
	v_add_co_ci_u32_e64 v5, s0, v49, v5, s0
	v_mov_b32_e32 v6, v13
	v_add_co_u32 v7, s0, v48, v7
	v_lshlrev_b64 v[9:10], 4, v[10:11]
	v_add_co_ci_u32_e64 v8, s0, v49, v8, s0
	v_mad_u64_u32 v[13:14], null, s3, v124, v[6:7]
	v_mov_b32_e32 v6, v18
	v_lshlrev_b64 v[14:15], 4, v[15:16]
	v_add_co_u32 v9, s0, v48, v9
	v_add_co_ci_u32_e64 v10, s0, v49, v10, s0
	v_mad_u64_u32 v[21:22], null, s3, v122, v[6:7]
	v_mad_u64_u32 v[22:23], null, s2, v119, 0
	v_mov_b32_e32 v6, v20
	v_lshlrev_b64 v[11:12], 4, v[12:13]
	v_add_co_u32 v14, s0, v48, v14
	v_mov_b32_e32 v18, v21
	v_mad_u64_u32 v[20:21], null, s3, v120, v[6:7]
	v_mov_b32_e32 v6, v23
	v_add_co_ci_u32_e64 v15, s0, v49, v15, s0
	v_lshlrev_b64 v[16:17], 4, v[17:18]
	v_add_co_u32 v11, s0, v48, v11
	v_mad_u64_u32 v[26:27], null, s3, v119, v[6:7]
	v_mov_b32_e32 v6, v25
	v_mad_u64_u32 v[27:28], null, s2, v117, 0
	v_lshlrev_b64 v[18:19], 4, v[19:20]
	v_add_co_ci_u32_e64 v12, s0, v49, v12, s0
	v_mov_b32_e32 v23, v26
	v_mad_u64_u32 v[20:21], null, s3, v114, v[6:7]
	v_mov_b32_e32 v6, v28
	v_add_co_u32 v16, s0, v48, v16
	v_lshlrev_b64 v[21:22], 4, v[22:23]
	v_add_co_ci_u32_e64 v17, s0, v49, v17, s0
	v_add_co_u32 v18, s0, v48, v18
	v_mov_b32_e32 v25, v20
	v_mad_u64_u32 v[31:32], null, s3, v117, v[6:7]
	v_mov_b32_e32 v6, v30
	v_mad_u64_u32 v[32:33], null, s2, v111, 0
	v_add_co_ci_u32_e64 v19, s0, v49, v19, s0
	v_add_co_u32 v20, s0, v48, v21
	v_add_co_ci_u32_e64 v21, s0, v49, v22, s0
	v_lshlrev_b64 v[22:23], 4, v[24:25]
	v_mad_u64_u32 v[24:25], null, s3, v110, v[6:7]
	v_mad_u64_u32 v[25:26], null, s2, v113, 0
	v_mov_b32_e32 v6, v33
	v_mov_b32_e32 v28, v31
	v_add_co_u32 v22, s0, v48, v22
	v_mov_b32_e32 v30, v24
	v_mad_u64_u32 v[33:34], null, s3, v111, v[6:7]
	v_mov_b32_e32 v6, v26
	v_mad_u64_u32 v[34:35], null, s2, v128, 0
	v_lshlrev_b64 v[27:28], 4, v[27:28]
	v_lshlrev_b64 v[29:30], 4, v[29:30]
	v_mad_u64_u32 v[36:37], null, s3, v113, v[6:7]
	v_add_co_ci_u32_e64 v23, s0, v49, v23, s0
	v_mov_b32_e32 v6, v35
	v_add_co_u32 v27, s0, v48, v27
	v_lshlrev_b64 v[31:32], 4, v[32:33]
	v_mov_b32_e32 v26, v36
	v_mad_u64_u32 v[35:36], null, s3, v128, v[6:7]
	v_mad_u64_u32 v[36:37], null, s2, v127, 0
	v_add_co_ci_u32_e64 v28, s0, v49, v28, s0
	v_add_co_u32 v29, s0, v48, v29
	v_lshlrev_b64 v[24:25], 4, v[25:26]
	v_add_co_ci_u32_e64 v30, s0, v49, v30, s0
	v_mad_u64_u32 v[38:39], null, s2, v125, 0
	v_add_co_u32 v31, s0, v48, v31
	v_mad_u64_u32 v[44:45], null, s2, v123, 0
	v_add_co_ci_u32_e64 v32, s0, v49, v32, s0
	v_mov_b32_e32 v6, v37
	v_add_co_u32 v56, s0, v48, v24
	v_add_co_ci_u32_e64 v57, s0, v49, v25, s0
	v_lshlrev_b64 v[24:25], 4, v[34:35]
	v_mad_u64_u32 v[46:47], null, s2, v121, 0
	v_mov_b32_e32 v13, v39
	v_mad_u64_u32 v[33:34], null, s3, v127, v[6:7]
	v_mov_b32_e32 v6, v45
	v_add_co_u32 v84, s0, v48, v24
	v_mad_u64_u32 v[34:35], null, s3, v125, v[13:14]
	v_add_co_ci_u32_e64 v85, s0, v49, v25, s0
	v_mad_u64_u32 v[24:25], null, s3, v123, v[6:7]
	v_mov_b32_e32 v6, v47
	v_mov_b32_e32 v37, v33
	s_clause 0x1
	global_load_dwordx4 v[76:79], v[4:5], off
	global_load_dwordx4 v[72:75], v[7:8], off
	v_mov_b32_e32 v39, v34
	v_mov_b32_e32 v95, v113
	v_mad_u64_u32 v[6:7], null, s3, v121, v[6:7]
	v_lshlrev_b64 v[4:5], 4, v[36:37]
	v_mov_b32_e32 v45, v24
	v_lshlrev_b64 v[7:8], 4, v[38:39]
	v_mov_b32_e32 v93, v111
	v_mov_b32_e32 v82, v114
	v_add_co_u32 v33, s0, v48, v4
	v_mov_b32_e32 v47, v6
	v_add_co_ci_u32_e64 v34, s0, v49, v5, s0
	v_lshlrev_b64 v[4:5], 4, v[44:45]
	v_add_co_u32 v86, s0, v48, v7
	v_lshlrev_b64 v[6:7], 4, v[46:47]
	v_add_co_ci_u32_e64 v87, s0, v49, v8, s0
	v_add_co_u32 v88, s0, v48, v4
	v_add_co_ci_u32_e64 v89, s0, v49, v5, s0
	v_add_co_u32 v90, s0, v48, v6
	v_add_co_ci_u32_e64 v91, s0, v49, v7, s0
	s_clause 0xf
	global_load_dwordx4 v[68:71], v[9:10], off
	global_load_dwordx4 v[64:67], v[14:15], off
	;; [unrolled: 1-line block ×16, first 2 shown]
	v_mov_b32_e32 v86, v118
	v_mov_b32_e32 v89, v112
	;; [unrolled: 1-line block ×6, first 2 shown]
.LBB0_13:
	s_or_b32 exec_lo, exec_lo, s1
	s_waitcnt vmcnt(12)
	v_add_f64 v[98:99], v[66:67], v[54:55]
	s_waitcnt vmcnt(10)
	v_add_f64 v[100:101], v[38:39], v[74:75]
	v_add_f64 v[135:136], v[64:65], v[52:53]
	v_add_f64 v[147:148], v[72:73], -v[36:37]
	v_add_f64 v[137:138], v[36:37], v[72:73]
	v_add_f64 v[149:150], v[64:65], -v[52:53]
	s_mov_b32 s6, 0x134454ff
	s_mov_b32 s7, 0xbfee6f0e
	;; [unrolled: 1-line block ×4, first 2 shown]
	v_add_f64 v[102:103], v[48:49], v[68:69]
	v_add_f64 v[104:105], v[76:77], v[44:45]
	v_add_f64 v[163:164], v[74:75], -v[38:39]
	v_add_f64 v[165:166], v[74:75], -v[66:67]
	;; [unrolled: 1-line block ×3, first 2 shown]
	v_add_f64 v[151:152], v[40:41], v[72:73]
	v_add_f64 v[153:154], v[42:43], v[74:75]
	v_add_f64 v[74:75], v[66:67], -v[74:75]
	v_add_f64 v[169:170], v[54:55], -v[38:39]
	;; [unrolled: 1-line block ×3, first 2 shown]
	s_mov_b32 s10, 0x4755a5e
	s_mov_b32 s11, 0xbfe2cf23
	v_fma_f64 v[98:99], v[98:99], -0.5, v[42:43]
	v_fma_f64 v[100:101], v[100:101], -0.5, v[42:43]
	;; [unrolled: 1-line block ×3, first 2 shown]
	s_mov_b32 s5, 0x3fe2cf23
	v_fma_f64 v[40:41], v[137:138], -0.5, v[40:41]
	s_mov_b32 s4, s10
	v_add_f64 v[106:107], v[76:77], v[0:1]
	v_add_f64 v[139:140], v[78:79], -v[46:47]
	v_add_f64 v[145:146], v[70:71], -v[50:51]
	;; [unrolled: 1-line block ×4, first 2 shown]
	v_fma_f64 v[102:103], v[102:103], -0.5, v[0:1]
	v_fma_f64 v[0:1], v[104:105], -0.5, v[0:1]
	v_add_f64 v[72:73], v[64:65], -v[72:73]
	v_add_f64 v[104:105], v[167:168], v[165:166]
	v_add_f64 v[175:176], v[52:53], -v[36:37]
	s_mov_b32 s14, 0x372fe950
	s_mov_b32 s15, 0x3fd3c6ef
	v_add_f64 v[74:75], v[169:170], v[74:75]
	v_add_f64 v[129:130], v[78:79], v[2:3]
	v_add_f64 v[141:142], v[76:77], -v[68:69]
	v_add_f64 v[143:144], v[68:69], -v[76:77]
	v_fma_f64 v[173:174], v[147:148], s[0:1], v[98:99]
	v_fma_f64 v[98:99], v[147:148], s[6:7], v[98:99]
	;; [unrolled: 1-line block ×8, first 2 shown]
	v_add_f64 v[42:43], v[68:69], -v[48:49]
	v_add_f64 v[155:156], v[44:45], -v[48:49]
	;; [unrolled: 1-line block ×3, first 2 shown]
	v_add_f64 v[68:69], v[68:69], v[106:107]
	v_add_f64 v[64:65], v[64:65], v[151:152]
	;; [unrolled: 1-line block ×3, first 2 shown]
	v_fma_f64 v[151:152], v[139:140], s[6:7], v[102:103]
	v_fma_f64 v[102:103], v[139:140], s[0:1], v[102:103]
	;; [unrolled: 1-line block ×4, first 2 shown]
	v_add_f64 v[72:73], v[175:176], v[72:73]
	s_waitcnt vmcnt(7)
	v_add_f64 v[177:178], v[4:5], v[60:61]
	v_add_f64 v[131:132], v[50:51], v[70:71]
	;; [unrolled: 1-line block ×3, first 2 shown]
	v_fma_f64 v[167:168], v[149:150], s[4:5], v[173:174]
	v_fma_f64 v[98:99], v[149:150], s[10:11], v[98:99]
	v_fma_f64 v[137:138], v[147:148], s[4:5], v[137:138]
	v_fma_f64 v[100:101], v[147:148], s[10:11], v[100:101]
	v_fma_f64 v[161:162], v[171:172], s[10:11], v[165:166]
	v_fma_f64 v[135:136], v[171:172], s[4:5], v[135:136]
	v_add_f64 v[96:97], v[78:79], -v[70:71]
	v_fma_f64 v[40:41], v[163:164], s[4:5], v[40:41]
	v_add_f64 v[78:79], v[70:71], -v[78:79]
	v_add_f64 v[179:180], v[6:7], v[62:63]
	v_add_f64 v[70:71], v[70:71], v[129:130]
	;; [unrolled: 1-line block ×7, first 2 shown]
	v_fma_f64 v[64:65], v[145:146], s[10:11], v[151:152]
	v_fma_f64 v[68:69], v[145:146], s[4:5], v[102:103]
	;; [unrolled: 1-line block ×4, first 2 shown]
	s_waitcnt vmcnt(3)
	v_add_f64 v[147:148], v[56:57], v[32:33]
	v_add_f64 v[173:174], v[60:61], -v[56:57]
	v_fma_f64 v[165:166], v[104:105], s[14:15], v[167:168]
	v_fma_f64 v[98:99], v[104:105], s[14:15], v[98:99]
	;; [unrolled: 1-line block ×8, first 2 shown]
	v_add_f64 v[185:186], v[56:57], -v[60:61]
	v_add_f64 v[189:190], v[56:57], -v[32:33]
	v_add_f64 v[56:57], v[56:57], v[177:178]
	s_mov_b32 s16, 0x9b97f4a8
	s_mov_b32 s17, 0x3fe9e377
	;; [unrolled: 1-line block ×4, first 2 shown]
	v_add_f64 v[76:77], v[76:77], -v[44:45]
	v_add_f64 v[181:182], v[46:47], -v[50:51]
	;; [unrolled: 1-line block ×4, first 2 shown]
	v_add_f64 v[187:188], v[58:59], v[34:35]
	v_add_f64 v[100:101], v[62:63], -v[58:59]
	v_add_f64 v[104:105], v[58:59], -v[62:63]
	v_mul_f64 v[135:136], v[165:166], s[10:11]
	v_mul_f64 v[151:152], v[98:99], s[10:11]
	v_fma_f64 v[143:144], v[72:73], s[14:15], v[167:168]
	v_mul_f64 v[145:146], v[137:138], s[6:7]
	v_mul_f64 v[72:73], v[74:75], s[6:7]
	v_add_f64 v[58:59], v[58:59], v[179:180]
	v_add_f64 v[50:51], v[50:51], v[70:71]
	;; [unrolled: 1-line block ×5, first 2 shown]
	v_fma_f64 v[48:49], v[129:130], s[14:15], v[64:65]
	v_fma_f64 v[64:65], v[129:130], s[14:15], v[68:69]
	;; [unrolled: 1-line block ×4, first 2 shown]
	s_waitcnt vmcnt(2)
	v_add_f64 v[141:142], v[14:15], v[22:23]
	s_waitcnt vmcnt(0)
	v_add_f64 v[155:156], v[18:19], v[10:11]
	s_mov_b32 s19, 0xbfd3c6ef
	s_mov_b32 s18, s14
	v_add_f64 v[153:154], v[12:13], v[20:21]
	v_add_f64 v[129:130], v[28:29], -v[32:33]
	v_add_f64 v[157:158], v[16:17], v[8:9]
	v_fma_f64 v[133:134], v[133:134], -0.5, v[2:3]
	v_fma_f64 v[52:53], v[139:140], s[16:17], v[135:136]
	v_fma_f64 v[102:103], v[106:107], s[20:21], v[151:152]
	v_add_f64 v[135:136], v[32:33], -v[28:29]
	v_fma_f64 v[68:69], v[143:144], s[14:15], v[145:146]
	v_fma_f64 v[72:73], v[40:41], s[18:19], v[72:73]
	v_add_f64 v[145:146], v[16:17], v[24:25]
	v_add_f64 v[151:152], v[18:19], v[26:27]
	;; [unrolled: 1-line block ×3, first 2 shown]
	v_fma_f64 v[131:132], v[131:132], -0.5, v[2:3]
	v_add_f64 v[56:57], v[34:35], v[58:59]
	v_add_f64 v[161:162], v[38:39], v[54:55]
	;; [unrolled: 1-line block ×3, first 2 shown]
	v_add_f64 v[38:39], v[44:45], -v[36:37]
	v_add_f64 v[159:160], v[46:47], v[50:51]
	v_fma_f64 v[58:59], v[141:142], -0.5, v[26:27]
	v_fma_f64 v[26:27], v[155:156], -0.5, v[26:27]
	v_add_f64 v[169:170], v[28:29], v[60:61]
	v_add_f64 v[163:164], v[62:63], -v[30:31]
	v_add_f64 v[60:61], v[60:61], -v[28:29]
	v_add_f64 v[62:63], v[30:31], v[62:63]
	v_add_f64 v[155:156], v[8:9], -v[12:13]
	v_add_f64 v[96:97], v[181:182], v[96:97]
	v_add_f64 v[2:3], v[48:49], v[52:53]
	;; [unrolled: 1-line block ×3, first 2 shown]
	v_add_f64 v[54:55], v[64:65], -v[102:103]
	v_add_f64 v[64:65], v[16:17], -v[8:9]
	;; [unrolled: 1-line block ×4, first 2 shown]
	v_add_f64 v[48:49], v[66:67], v[68:69]
	v_add_f64 v[68:69], v[20:21], -v[12:13]
	v_add_f64 v[50:51], v[70:71], v[72:73]
	v_add_f64 v[52:53], v[70:71], -v[72:73]
	v_fma_f64 v[70:71], v[153:154], -0.5, v[24:25]
	v_add_f64 v[72:73], v[18:19], -v[10:11]
	v_add_f64 v[28:29], v[28:29], v[32:33]
	v_add_f64 v[32:33], v[20:21], v[145:146]
	v_add_f64 v[102:103], v[22:23], -v[14:15]
	v_fma_f64 v[24:25], v[157:158], -0.5, v[24:25]
	v_add_f64 v[141:142], v[22:23], v[151:152]
	v_fma_f64 v[153:154], v[42:43], s[6:7], v[133:134]
	v_add_f64 v[66:67], v[30:31], -v[34:35]
	v_add_f64 v[34:35], v[34:35], -v[30:31]
	v_add_f64 v[30:31], v[30:31], v[56:57]
	v_fma_f64 v[56:57], v[147:148], -0.5, v[4:5]
	v_fma_f64 v[145:146], v[76:77], s[0:1], v[131:132]
	v_fma_f64 v[131:132], v[76:77], s[6:7], v[131:132]
	v_add_f64 v[147:148], v[16:17], -v[20:21]
	v_add_f64 v[151:152], v[18:19], -v[22:23]
	;; [unrolled: 1-line block ×3, first 2 shown]
	v_fma_f64 v[167:168], v[64:65], s[0:1], v[58:59]
	v_add_f64 v[18:19], v[22:23], -v[18:19]
	v_add_f64 v[22:23], v[14:15], -v[10:11]
	;; [unrolled: 1-line block ×3, first 2 shown]
	v_fma_f64 v[20:21], v[68:69], s[6:7], v[26:27]
	v_fma_f64 v[26:27], v[68:69], s[0:1], v[26:27]
	v_fma_f64 v[4:5], v[169:170], -0.5, v[4:5]
	v_fma_f64 v[169:170], v[72:73], s[6:7], v[70:71]
	v_fma_f64 v[58:59], v[64:65], s[6:7], v[58:59]
	v_add_f64 v[32:33], v[12:13], v[32:33]
	v_add_f64 v[12:13], v[12:13], -v[8:9]
	v_fma_f64 v[171:172], v[102:103], s[0:1], v[24:25]
	v_add_f64 v[14:15], v[14:15], v[141:142]
	v_fma_f64 v[141:142], v[187:188], -0.5, v[6:7]
	v_fma_f64 v[6:7], v[62:63], -0.5, v[6:7]
	v_add_f64 v[62:63], v[183:184], v[78:79]
	v_fma_f64 v[78:79], v[76:77], s[4:5], v[153:154]
	v_fma_f64 v[133:134], v[42:43], s[0:1], v[133:134]
	;; [unrolled: 1-line block ×4, first 2 shown]
	v_add_f64 v[131:132], v[155:156], v[147:148]
	v_add_f64 v[147:148], v[157:158], v[151:152]
	v_fma_f64 v[151:152], v[68:69], s[4:5], v[167:168]
	v_fma_f64 v[70:71], v[72:73], s[0:1], v[70:71]
	v_add_f64 v[18:19], v[22:23], v[18:19]
	v_fma_f64 v[22:23], v[102:103], s[6:7], v[24:25]
	v_fma_f64 v[20:21], v[64:65], s[4:5], v[20:21]
	v_fma_f64 v[24:25], v[64:65], s[10:11], v[26:27]
	v_mul_f64 v[74:75], v[74:75], s[18:19]
	v_fma_f64 v[26:27], v[102:103], s[10:11], v[169:170]
	v_fma_f64 v[58:59], v[68:69], s[10:11], v[58:59]
	v_add_f64 v[32:33], v[8:9], v[32:33]
	v_add_f64 v[8:9], v[12:13], v[16:17]
	v_fma_f64 v[12:13], v[72:73], s[10:11], v[171:172]
	v_add_f64 v[153:154], v[10:11], v[14:15]
	v_fma_f64 v[14:15], v[163:164], s[6:7], v[56:57]
	v_fma_f64 v[16:17], v[163:164], s[0:1], v[56:57]
	;; [unrolled: 1-line block ×18, first 2 shown]
	v_mul_f64 v[76:77], v[165:166], s[16:17]
	v_mul_f64 v[58:59], v[143:144], s[0:1]
	v_fma_f64 v[12:13], v[8:9], s[14:15], v[12:13]
	v_add_f64 v[102:103], v[129:130], v[173:174]
	v_add_f64 v[129:130], v[135:136], v[185:186]
	v_mul_f64 v[98:99], v[98:99], s[20:21]
	v_fma_f64 v[56:57], v[163:164], s[10:11], v[56:57]
	v_fma_f64 v[4:5], v[163:164], s[4:5], v[4:5]
	v_add_f64 v[34:35], v[34:35], v[104:105]
	v_fma_f64 v[104:105], v[60:61], s[6:7], v[141:142]
	v_fma_f64 v[78:79], v[60:61], s[4:5], v[78:79]
	;; [unrolled: 1-line block ×5, first 2 shown]
	v_mul_f64 v[60:61], v[96:97], s[10:11]
	v_fma_f64 v[131:132], v[131:132], s[14:15], v[70:71]
	v_fma_f64 v[8:9], v[8:9], s[14:15], v[22:23]
	v_mul_f64 v[22:23], v[20:21], s[6:7]
	v_mul_f64 v[70:71], v[18:19], s[6:7]
	v_add_f64 v[100:101], v[66:67], v[100:101]
	v_mul_f64 v[133:134], v[24:25], s[4:5]
	v_mul_f64 v[135:136], v[26:27], s[10:11]
	v_fma_f64 v[66:67], v[189:190], s[4:5], v[72:73]
	v_mul_f64 v[18:19], v[18:19], s[18:19]
	v_mul_f64 v[72:73], v[12:13], s[0:1]
	v_fma_f64 v[10:11], v[62:63], s[14:15], v[10:11]
	v_fma_f64 v[62:63], v[139:140], s[4:5], v[76:77]
	;; [unrolled: 1-line block ×10, first 2 shown]
	v_mul_f64 v[6:7], v[26:27], s[20:21]
	v_fma_f64 v[106:107], v[102:103], s[14:15], v[14:15]
	v_fma_f64 v[102:103], v[102:103], s[14:15], v[16:17]
	;; [unrolled: 1-line block ×5, first 2 shown]
	v_mul_u32_u24_e32 v26, 0x140, v83
	v_fma_f64 v[104:105], v[96:97], s[16:17], v[133:134]
	v_fma_f64 v[133:134], v[131:132], s[20:21], v[135:136]
	;; [unrolled: 1-line block ×5, first 2 shown]
	v_lshlrev_b32_e32 v26, 3, v26
	v_add_f64 v[58:59], v[64:65], v[62:63]
	v_add_f64 v[60:61], v[64:65], -v[62:63]
	v_add_f64 v[62:63], v[68:69], -v[76:77]
	v_add_f64 v[65:66], v[68:69], v[76:77]
	v_add_f64 v[67:68], v[10:11], v[40:41]
	v_add_f64 v[69:70], v[42:43], v[98:99]
	v_add_f64 v[73:74], v[10:11], -v[40:41]
	v_add_f64 v[75:76], v[42:43], -v[98:99]
	v_fma_f64 v[40:41], v[100:101], s[14:15], v[4:5]
	v_fma_f64 v[42:43], v[131:132], s[4:5], v[6:7]
	v_add_f64 v[4:5], v[28:29], v[32:33]
	v_add_f64 v[56:57], v[161:162], v[159:160]
	;; [unrolled: 1-line block ×5, first 2 shown]
	v_add_f64 v[20:21], v[129:130], -v[24:25]
	v_mul_u32_u24_e32 v24, 10, v115
	v_add_nc_u32_e32 v25, 0, v26
	v_add_f64 v[14:15], v[28:29], -v[32:33]
	v_add_f64 v[12:13], v[102:103], v[133:134]
	v_add_f64 v[71:72], v[159:160], -v[161:162]
	v_add_f64 v[16:17], v[106:107], -v[16:17]
	v_lshl_add_u32 v77, v24, 3, v25
	v_mul_i32_i24_e32 v24, 10, v82
	v_add_f64 v[18:19], v[137:138], -v[22:23]
	v_add_f64 v[96:97], v[30:31], v[153:154]
	v_add_f64 v[98:99], v[135:136], v[104:105]
	v_add_nc_u32_e32 v27, -10, v115
	v_cmp_gt_u32_e64 s0, 10, v115
	v_add_f64 v[22:23], v[102:103], -v[133:134]
	v_add_f64 v[100:101], v[135:136], -v[104:105]
	;; [unrolled: 1-line block ×3, first 2 shown]
	v_add_f64 v[104:105], v[78:79], v[139:140]
	v_add_f64 v[106:107], v[34:35], v[144:145]
	v_add_f64 v[142:143], v[30:31], -v[153:154]
	v_add_f64 v[140:141], v[40:41], v[42:43]
	v_add_f64 v[144:145], v[34:35], -v[144:145]
	v_add_f64 v[146:147], v[40:41], -v[42:43]
	v_lshl_add_u32 v78, v24, 3, v25
	ds_write_b128 v77, v[0:3]
	ds_write_b128 v77, v[48:51] offset:16
	ds_write_b128 v77, v[36:39] offset:32
	;; [unrolled: 1-line block ×4, first 2 shown]
	ds_write_b128 v78, v[4:7]
	ds_write_b128 v78, v[8:11] offset:16
	v_cndmask_b32_e64 v46, v27, v115, s0
	v_and_b32_e32 v28, 0xff, v82
	v_lshlrev_b32_e32 v0, 3, v115
	v_lshl_add_u32 v134, v84, 3, v25
	v_lshl_add_u32 v130, v87, 3, v25
	v_mul_i32_i24_e32 v27, 3, v46
	v_mul_lo_u16 v43, 0xcd, v28
	v_mov_b32_e32 v28, 0
	v_add3_u32 v131, 0, v0, v26
	v_add_nc_u32_e32 v129, v25, v0
	v_lshl_add_u32 v135, v93, 3, v25
	v_mad_i32_i24 v132, 0xffffffb8, v82, v78
	v_lshlrev_b64 v[44:45], 4, v[27:28]
	v_add_nc_u32_e32 v64, 0x800, v131
	v_lshl_add_u32 v136, v85, 3, v25
	v_and_b32_e32 v47, 0xff, v84
	v_lshl_add_u32 v133, v91, 3, v25
	v_lshl_add_u32 v137, v89, 3, v25
	;; [unrolled: 1-line block ×3, first 2 shown]
	ds_write_b128 v78, v[12:15] offset:32
	ds_write_b128 v78, v[16:19] offset:48
	;; [unrolled: 1-line block ×3, first 2 shown]
	s_waitcnt lgkmcnt(0)
	s_barrier
	buffer_gl0_inv
	ds_read2_b64 v[12:15], v131 offset0:160 offset1:176
	ds_read2_b64 v[0:3], v131 offset0:224 offset1:240
	ds_read_b64 v[20:21], v129
	ds_read_b64 v[41:42], v130
	;; [unrolled: 1-line block ×4, first 2 shown]
	ds_read2_b64 v[8:11], v64 offset1:16
	ds_read2_b64 v[4:7], v131 offset0:192 offset1:208
	v_lshl_add_u32 v139, v95, 3, v25
	ds_read_b64 v[24:25], v134
	ds_read_b64 v[39:40], v135
	;; [unrolled: 1-line block ×6, first 2 shown]
	ds_read2_b64 v[16:19], v64 offset0:32 offset1:48
	s_waitcnt lgkmcnt(0)
	s_barrier
	buffer_gl0_inv
	ds_write_b128 v77, v[56:59]
	ds_write_b128 v77, v[65:68] offset:16
	ds_write_b128 v77, v[69:72] offset:32
	;; [unrolled: 1-line block ×4, first 2 shown]
	ds_write_b128 v78, v[96:99]
	ds_write_b128 v78, v[104:107] offset:16
	v_lshrrev_b16 v43, 11, v43
	v_add_co_u32 v77, s0, s8, v44
	ds_write_b128 v78, v[140:143] offset:32
	ds_write_b128 v78, v[100:103] offset:48
	;; [unrolled: 1-line block ×3, first 2 shown]
	v_add_co_ci_u32_e64 v78, s0, s9, v45, s0
	v_mul_lo_u16 v45, 0xcd, v47
	v_mul_lo_u16 v27, v43, 10
	v_and_b32_e32 v52, 0xff, v85
	v_and_b32_e32 v54, 0xff, v86
	s_waitcnt lgkmcnt(0)
	v_lshrrev_b16 v45, 11, v45
	v_sub_nc_u16 v44, v82, v27
	v_mov_b32_e32 v27, 3
	v_mul_lo_u16 v55, 0xcd, v52
	v_mul_lo_u16 v56, 0xcd, v54
	;; [unrolled: 1-line block ×3, first 2 shown]
	s_barrier
	v_mul_u32_u24_sdwa v51, v44, v27 dst_sel:DWORD dst_unused:UNUSED_PAD src0_sel:BYTE_0 src1_sel:DWORD
	v_lshrrev_b16 v83, 11, v55
	buffer_gl0_inv
	v_sub_nc_u16 v79, v84, v53
	global_load_dwordx4 v[47:50], v[77:78], off offset:16
	v_lshlrev_b32_e32 v63, 4, v51
	v_lshrrev_b16 v88, 11, v56
	v_mul_lo_u16 v59, v83, 10
	v_mul_u32_u24_sdwa v55, v79, v27 dst_sel:DWORD dst_unused:UNUSED_PAD src0_sel:BYTE_0 src1_sel:DWORD
	v_and_b32_e32 v43, 0xffff, v43
	global_load_dwordx4 v[51:54], v63, s[8:9] offset:16
	v_mul_lo_u16 v60, v88, 10
	v_sub_nc_u16 v92, v85, v59
	v_lshlrev_b32_e32 v90, 4, v55
	global_load_dwordx4 v[55:58], v63, s[8:9] offset:32
	v_cmp_lt_u32_e64 s0, 9, v115
	v_sub_nc_u16 v94, v86, v60
	v_mul_u32_u24_sdwa v65, v92, v27 dst_sel:DWORD dst_unused:UNUSED_PAD src0_sel:BYTE_0 src1_sel:DWORD
	global_load_dwordx4 v[59:62], v90, s[8:9] offset:32
	v_and_b32_e32 v45, 0xffff, v45
	v_lshlrev_b32_sdwa v79, v27, v79 dst_sel:DWORD dst_unused:UNUSED_PAD src0_sel:DWORD src1_sel:BYTE_0
	v_mul_u32_u24_sdwa v69, v94, v27 dst_sel:DWORD dst_unused:UNUSED_PAD src0_sel:BYTE_0 src1_sel:DWORD
	v_lshlrev_b32_e32 v108, 4, v65
	global_load_dwordx4 v[65:68], v[77:78], off
	v_lshlrev_b32_sdwa v92, v27, v92 dst_sel:DWORD dst_unused:UNUSED_PAD src0_sel:DWORD src1_sel:BYTE_0
	v_and_b32_e32 v83, 0xffff, v83
	v_lshlrev_b32_e32 v156, 4, v69
	s_clause 0x9
	global_load_dwordx4 v[69:72], v108, s[8:9] offset:32
	global_load_dwordx4 v[73:76], v156, s[8:9] offset:32
	;; [unrolled: 1-line block ×4, first 2 shown]
	global_load_dwordx4 v[104:107], v[77:78], off offset:32
	global_load_dwordx4 v[140:143], v156, s[8:9] offset:16
	global_load_dwordx4 v[144:147], v63, s[8:9]
	global_load_dwordx4 v[148:151], v90, s[8:9]
	;; [unrolled: 1-line block ×4, first 2 shown]
	ds_read2_b64 v[160:163], v131 offset0:160 offset1:176
	ds_read2_b64 v[164:167], v64 offset1:16
	ds_read_b64 v[182:183], v130
	ds_read2_b64 v[168:171], v64 offset0:32 offset1:48
	ds_read2_b64 v[172:175], v131 offset0:192 offset1:208
	ds_read_b64 v[186:187], v135
	ds_read2_b64 v[176:179], v131 offset0:224 offset1:240
	v_lshlrev_b32_e32 v90, 3, v46
	v_mad_u32_u24 v108, 0x140, v43, 0
	v_cndmask_b32_e64 v63, 0, 0x140, s0
	v_and_b32_e32 v88, 0xffff, v88
	v_mad_u32_u24 v83, 0x140, v83, 0
	v_cmp_gt_u32_e64 s0, 40, v84
	v_add_nc_u32_e32 v63, 0, v63
	v_mad_u32_u24 v88, 0x140, v88, 0
	v_add3_u32 v83, v83, v92, v26
	v_add3_u32 v90, v63, v90, v26
	s_waitcnt vmcnt(14) lgkmcnt(6)
	v_mul_f64 v[77:78], v[160:161], v[49:50]
	v_mul_f64 v[49:50], v[12:13], v[49:50]
	s_waitcnt vmcnt(13)
	v_mul_f64 v[180:181], v[162:163], v[53:54]
	v_mul_f64 v[53:54], v[14:15], v[53:54]
	s_waitcnt vmcnt(12) lgkmcnt(5)
	v_mul_f64 v[184:185], v[164:165], v[57:58]
	v_mul_f64 v[57:58], v[8:9], v[57:58]
	s_waitcnt vmcnt(11)
	v_mul_f64 v[188:189], v[166:167], v[61:62]
	v_mul_f64 v[61:62], v[10:11], v[61:62]
	s_waitcnt vmcnt(9) lgkmcnt(3)
	v_mul_f64 v[190:191], v[168:169], v[71:72]
	v_mul_f64 v[71:72], v[16:17], v[71:72]
	s_waitcnt vmcnt(7) lgkmcnt(2)
	v_mul_f64 v[192:193], v[172:173], v[98:99]
	s_waitcnt vmcnt(6)
	v_mul_f64 v[194:195], v[174:175], v[102:103]
	v_fma_f64 v[12:13], v[12:13], v[47:48], v[77:78]
	v_fma_f64 v[46:47], v[160:161], v[47:48], -v[49:50]
	ds_read_b64 v[48:49], v133
	ds_read_b64 v[77:78], v132
	;; [unrolled: 1-line block ×4, first 2 shown]
	v_fma_f64 v[14:15], v[14:15], v[51:52], v[180:181]
	v_mul_f64 v[180:181], v[182:183], v[67:68]
	v_mul_f64 v[67:68], v[41:42], v[67:68]
	v_fma_f64 v[50:51], v[162:163], v[51:52], -v[53:54]
	v_mul_f64 v[52:53], v[170:171], v[75:76]
	v_fma_f64 v[8:9], v[8:9], v[55:56], v[184:185]
	v_fma_f64 v[54:55], v[164:165], v[55:56], -v[57:58]
	ds_read_b64 v[56:57], v139
	ds_read_b64 v[162:163], v137
	s_waitcnt vmcnt(5) lgkmcnt(6)
	v_mul_f64 v[164:165], v[178:179], v[106:107]
	v_fma_f64 v[10:11], v[10:11], v[59:60], v[188:189]
	s_waitcnt vmcnt(4)
	v_mul_f64 v[184:185], v[176:177], v[142:143]
	v_fma_f64 v[58:59], v[166:167], v[59:60], -v[61:62]
	v_mul_f64 v[106:107], v[2:3], v[106:107]
	s_waitcnt vmcnt(3) lgkmcnt(5)
	v_mul_f64 v[60:61], v[48:49], v[146:147]
	s_waitcnt vmcnt(2)
	v_mul_f64 v[166:167], v[186:187], v[150:151]
	ds_read_b64 v[188:189], v136
	ds_read_b64 v[62:63], v134
	v_fma_f64 v[16:17], v[16:17], v[69:70], v[190:191]
	v_fma_f64 v[69:70], v[168:169], v[69:70], -v[71:72]
	v_add_f64 v[12:13], v[20:21], -v[12:13]
	s_waitcnt vmcnt(0) lgkmcnt(0)
	v_add_f64 v[14:15], v[22:23], -v[14:15]
	v_fma_f64 v[41:42], v[41:42], v[65:66], v[180:181]
	v_fma_f64 v[65:66], v[182:183], v[65:66], -v[67:68]
	v_mul_f64 v[67:68], v[18:19], v[75:76]
	v_fma_f64 v[18:19], v[18:19], v[73:74], v[52:53]
	v_mul_f64 v[52:53], v[4:5], v[98:99]
	v_mul_f64 v[98:99], v[6:7], v[102:103]
	;; [unrolled: 1-line block ×5, first 2 shown]
	v_fma_f64 v[2:3], v[2:3], v[104:105], v[164:165]
	v_fma_f64 v[164:165], v[0:1], v[140:141], v[184:185]
	v_mul_f64 v[0:1], v[0:1], v[142:143]
	v_mul_f64 v[142:143], v[39:40], v[150:151]
	v_fma_f64 v[33:34], v[33:34], v[144:145], v[60:61]
	v_mul_f64 v[60:61], v[35:36], v[154:155]
	v_mul_f64 v[150:151], v[37:38], v[158:159]
	v_fma_f64 v[4:5], v[4:5], v[96:97], v[192:193]
	v_fma_f64 v[39:40], v[39:40], v[148:149], v[166:167]
	;; [unrolled: 1-line block ×3, first 2 shown]
	v_mad_u32_u24 v154, 0x140, v45, 0
	v_add_f64 v[45:46], v[160:161], -v[46:47]
	v_add_f64 v[50:51], v[77:78], -v[50:51]
	v_fma_f64 v[20:21], v[20:21], 2.0, -v[12:13]
	v_fma_f64 v[22:23], v[22:23], 2.0, -v[14:15]
	v_fma_f64 v[67:68], v[170:171], v[73:74], -v[67:68]
	s_barrier
	v_fma_f64 v[52:53], v[172:173], v[96:97], -v[52:53]
	v_fma_f64 v[71:72], v[174:175], v[100:101], -v[98:99]
	v_fma_f64 v[37:38], v[37:38], v[156:157], v[102:103]
	v_lshlrev_b32_sdwa v102, v27, v44 dst_sel:DWORD dst_unused:UNUSED_PAD src0_sel:DWORD src1_sel:BYTE_0
	v_fma_f64 v[43:44], v[178:179], v[104:105], -v[106:107]
	v_fma_f64 v[35:36], v[35:36], v[152:153], v[146:147]
	v_fma_f64 v[48:49], v[48:49], v[144:145], -v[75:76]
	v_fma_f64 v[0:1], v[176:177], v[140:141], -v[0:1]
	;; [unrolled: 1-line block ×3, first 2 shown]
	v_add_f64 v[2:3], v[41:42], -v[2:3]
	v_fma_f64 v[60:61], v[162:163], v[152:153], -v[60:61]
	v_fma_f64 v[56:57], v[56:57], v[156:157], -v[150:151]
	v_add_f64 v[8:9], v[33:34], -v[8:9]
	v_add_f64 v[4:5], v[24:25], -v[4:5]
	;; [unrolled: 1-line block ×5, first 2 shown]
	v_lshlrev_b32_sdwa v27, v27, v94 dst_sel:DWORD dst_unused:UNUSED_PAD src0_sel:DWORD src1_sel:BYTE_0
	v_add3_u32 v94, v108, v102, v26
	buffer_gl0_inv
	v_add3_u32 v79, v154, v79, v26
	v_add_f64 v[52:53], v[62:63], -v[52:53]
	v_add_f64 v[71:72], v[188:189], -v[71:72]
	;; [unrolled: 1-line block ×3, first 2 shown]
	v_add3_u32 v88, v88, v27, v26
	v_add_f64 v[43:44], v[65:66], -v[43:44]
	v_add_f64 v[16:17], v[35:36], -v[16:17]
	;; [unrolled: 1-line block ×5, first 2 shown]
	v_fma_f64 v[41:42], v[41:42], 2.0, -v[2:3]
	v_add_f64 v[69:70], v[60:61], -v[69:70]
	v_add_f64 v[67:68], v[56:57], -v[67:68]
	v_fma_f64 v[33:34], v[33:34], 2.0, -v[8:9]
	v_fma_f64 v[24:25], v[24:25], 2.0, -v[4:5]
	;; [unrolled: 1-line block ×5, first 2 shown]
	v_add_f64 v[102:103], v[45:46], -v[2:3]
	v_add_f64 v[104:105], v[50:51], -v[8:9]
	v_mul_i32_i24_e32 v27, 3, v82
	v_fma_f64 v[62:63], v[62:63], 2.0, -v[52:53]
	v_add_f64 v[106:107], v[52:53], -v[10:11]
	v_fma_f64 v[37:38], v[37:38], 2.0, -v[18:19]
	v_add_f64 v[96:97], v[12:13], v[43:44]
	v_fma_f64 v[43:44], v[65:66], 2.0, -v[43:44]
	v_fma_f64 v[65:66], v[160:161], 2.0, -v[45:46]
	;; [unrolled: 1-line block ×3, first 2 shown]
	v_add_f64 v[98:99], v[14:15], v[54:55]
	v_fma_f64 v[47:48], v[48:49], 2.0, -v[54:55]
	v_fma_f64 v[54:55], v[77:78], 2.0, -v[50:51]
	;; [unrolled: 1-line block ×7, first 2 shown]
	v_add_f64 v[41:42], v[20:21], -v[41:42]
	v_add_f64 v[33:34], v[22:23], -v[33:34]
	v_add_f64 v[58:59], v[4:5], v[58:59]
	v_add_f64 v[39:40], v[24:25], -v[39:40]
	v_add_f64 v[69:70], v[6:7], v[69:70]
	v_add_f64 v[67:68], v[73:74], v[67:68]
	v_add_f64 v[140:141], v[71:72], -v[16:17]
	v_add_f64 v[142:143], v[0:1], -v[18:19]
	;; [unrolled: 1-line block ×3, first 2 shown]
	v_fma_f64 v[45:46], v[45:46], 2.0, -v[102:103]
	v_fma_f64 v[2:3], v[12:13], 2.0, -v[96:97]
	;; [unrolled: 1-line block ×3, first 2 shown]
	v_add_f64 v[43:44], v[65:66], -v[43:44]
	v_add_f64 v[35:36], v[29:30], -v[35:36]
	v_fma_f64 v[8:9], v[14:15], 2.0, -v[98:99]
	v_fma_f64 v[51:52], v[52:53], 2.0, -v[106:107]
	v_add_f64 v[47:48], v[54:55], -v[47:48]
	v_add_f64 v[75:76], v[62:63], -v[75:76]
	;; [unrolled: 1-line block ×4, first 2 shown]
	v_fma_f64 v[10:11], v[20:21], 2.0, -v[41:42]
	v_fma_f64 v[12:13], v[22:23], 2.0, -v[33:34]
	;; [unrolled: 1-line block ×9, first 2 shown]
	ds_write2_b64 v90, v[41:42], v[96:97] offset0:20 offset1:30
	v_fma_f64 v[65:66], v[65:66], 2.0, -v[43:44]
	v_fma_f64 v[16:17], v[29:30], 2.0, -v[35:36]
	ds_write2_b64 v90, v[10:11], v[2:3] offset1:10
	ds_write2_b64 v94, v[12:13], v[8:9] offset1:10
	ds_write2_b64 v94, v[33:34], v[98:99] offset0:20 offset1:30
	ds_write2_b64 v79, v[14:15], v[4:5] offset1:10
	ds_write2_b64 v79, v[39:40], v[58:59] offset0:20 offset1:30
	;; [unrolled: 2-line block ×4, first 2 shown]
	v_fma_f64 v[53:54], v[54:55], 2.0, -v[47:48]
	v_fma_f64 v[62:63], v[62:63], 2.0, -v[75:76]
	;; [unrolled: 1-line block ×4, first 2 shown]
	s_waitcnt lgkmcnt(0)
	s_barrier
	buffer_gl0_inv
	ds_read_b64 v[20:21], v129
	ds_read_b64 v[35:36], v130
	;; [unrolled: 1-line block ×10, first 2 shown]
	ds_read2_b64 v[8:11], v131 offset0:160 offset1:176
	ds_read2_b64 v[0:3], v131 offset0:224 offset1:240
	ds_read2_b64 v[16:19], v64 offset1:16
	ds_read2_b64 v[4:7], v131 offset0:192 offset1:208
	ds_read2_b64 v[12:15], v64 offset0:32 offset1:48
	s_waitcnt lgkmcnt(0)
	s_barrier
	buffer_gl0_inv
	ds_write2_b64 v90, v[65:66], v[45:46] offset1:10
	v_add_nc_u32_e32 v45, -8, v115
	ds_write2_b64 v90, v[43:44], v[102:103] offset0:20 offset1:30
	ds_write2_b64 v94, v[53:54], v[49:50] offset1:10
	v_cndmask_b32_e64 v43, v45, v84, s0
	v_lshlrev_b64 v[44:45], 4, v[27:28]
	ds_write2_b64 v94, v[47:48], v[104:105] offset0:20 offset1:30
	ds_write2_b64 v79, v[62:63], v[51:52] offset1:10
	ds_write2_b64 v79, v[75:76], v[106:107] offset0:20 offset1:30
	ds_write2_b64 v83, v[77:78], v[71:72] offset1:10
	;; [unrolled: 2-line block ×3, first 2 shown]
	ds_write2_b64 v88, v[56:57], v[142:143] offset0:20 offset1:30
	s_waitcnt lgkmcnt(0)
	v_mul_i32_i24_e32 v27, 3, v43
	s_barrier
	v_add_co_u32 v77, s0, s8, v44
	v_add_co_ci_u32_e64 v78, s0, s9, v45, s0
	v_lshlrev_b64 v[46:47], 4, v[27:28]
	buffer_gl0_inv
	v_mul_u32_u24_e32 v27, 3, v115
	v_lshlrev_b32_e32 v79, 3, v43
	v_add_co_u32 v104, s0, s8, v46
	v_add_co_ci_u32_e64 v105, s0, s9, v47, s0
	global_load_dwordx4 v[44:47], v[77:78], off offset:512
	v_lshlrev_b32_e32 v27, 4, v27
	v_cmp_lt_u32_e64 s0, 39, v84
	s_clause 0xd
	global_load_dwordx4 v[48:51], v[104:105], off offset:512
	global_load_dwordx4 v[52:55], v27, s[8:9] offset:896
	global_load_dwordx4 v[56:59], v27, s[8:9] offset:1664
	;; [unrolled: 1-line block ×3, first 2 shown]
	global_load_dwordx4 v[65:68], v[77:78], off offset:496
	global_load_dwordx4 v[69:72], v[104:105], off offset:496
	global_load_dwordx4 v[73:76], v27, s[8:9] offset:880
	global_load_dwordx4 v[96:99], v27, s[8:9] offset:480
	global_load_dwordx4 v[100:103], v[77:78], off offset:480
	global_load_dwordx4 v[104:107], v[104:105], off offset:480
	global_load_dwordx4 v[140:143], v27, s[8:9] offset:864
	global_load_dwordx4 v[144:147], v27, s[8:9] offset:512
	;; [unrolled: 1-line block ×4, first 2 shown]
	ds_read2_b64 v[156:159], v64 offset1:16
	ds_read2_b64 v[160:163], v64 offset0:32 offset1:48
	ds_read2_b64 v[164:167], v131 offset0:160 offset1:176
	;; [unrolled: 1-line block ×3, first 2 shown]
	ds_read_b64 v[178:179], v130
	ds_read_b64 v[180:181], v135
	;; [unrolled: 1-line block ×3, first 2 shown]
	ds_read2_b64 v[172:175], v131 offset0:224 offset1:240
	ds_read_b64 v[186:187], v139
	ds_read_b64 v[190:191], v132
	;; [unrolled: 1-line block ×5, first 2 shown]
	v_cndmask_b32_e64 v27, 0, 0x500, s0
	v_add_nc_u32_e32 v27, 0, v27
	v_add3_u32 v83, v27, v79, v26
	s_waitcnt vmcnt(12) lgkmcnt(11)
	v_mul_f64 v[182:183], v[160:161], v[54:55]
	v_mul_f64 v[54:55], v[12:13], v[54:55]
	s_waitcnt vmcnt(11)
	v_mul_f64 v[188:189], v[162:163], v[58:59]
	v_mul_f64 v[58:59], v[14:15], v[58:59]
	;; [unrolled: 1-line block ×4, first 2 shown]
	s_waitcnt vmcnt(6) lgkmcnt(8)
	v_mul_f64 v[198:199], v[178:179], v[98:99]
	v_mul_f64 v[176:177], v[158:159], v[50:51]
	v_mul_f64 v[50:51], v[18:19], v[50:51]
	s_waitcnt vmcnt(5) lgkmcnt(6)
	v_mul_f64 v[200:201], v[184:185], v[102:103]
	v_mul_f64 v[98:99], v[35:36], v[98:99]
	v_mul_f64 v[102:103], v[37:38], v[102:103]
	v_fma_f64 v[12:13], v[12:13], v[52:53], v[182:183]
	v_fma_f64 v[52:53], v[160:161], v[52:53], -v[54:55]
	s_waitcnt vmcnt(4)
	v_mul_f64 v[54:55], v[180:181], v[106:107]
	v_fma_f64 v[14:15], v[14:15], v[56:57], v[188:189]
	v_fma_f64 v[56:57], v[162:163], v[56:57], -v[58:59]
	s_waitcnt vmcnt(2) lgkmcnt(5)
	v_mul_f64 v[58:59], v[174:175], v[146:147]
	v_fma_f64 v[16:17], v[16:17], v[44:45], v[77:78]
	v_fma_f64 v[44:45], v[156:157], v[44:45], -v[46:47]
	v_mul_f64 v[46:47], v[164:165], v[62:63]
	v_mul_f64 v[77:78], v[166:167], v[67:68]
	v_fma_f64 v[18:19], v[18:19], v[48:49], v[176:177]
	v_mul_f64 v[176:177], v[170:171], v[75:76]
	v_mul_f64 v[156:157], v[168:169], v[71:72]
	s_waitcnt lgkmcnt(2)
	v_mul_f64 v[160:161], v[192:193], v[142:143]
	s_waitcnt vmcnt(1)
	v_mul_f64 v[162:163], v[172:173], v[150:151]
	v_mul_f64 v[62:63], v[8:9], v[62:63]
	v_mul_f64 v[67:68], v[10:11], v[67:68]
	v_fma_f64 v[35:36], v[35:36], v[96:97], v[198:199]
	v_mul_f64 v[106:107], v[39:40], v[106:107]
	v_mul_f64 v[142:143], v[41:42], v[142:143]
	v_fma_f64 v[37:38], v[37:38], v[100:101], v[200:201]
	v_fma_f64 v[48:49], v[158:159], v[48:49], -v[50:51]
	ds_read_b64 v[50:51], v134
	ds_read_b64 v[158:159], v138
	s_waitcnt vmcnt(0) lgkmcnt(0)
	v_fma_f64 v[39:40], v[39:40], v[104:105], v[54:55]
	v_mul_f64 v[54:55], v[33:34], v[154:155]
	s_barrier
	buffer_gl0_inv
	v_fma_f64 v[8:9], v[8:9], v[60:61], v[46:47]
	v_mul_f64 v[46:47], v[4:5], v[71:72]
	v_mul_f64 v[71:72], v[186:187], v[154:155]
	v_fma_f64 v[10:11], v[10:11], v[65:66], v[77:78]
	v_fma_f64 v[77:78], v[6:7], v[73:74], v[176:177]
	v_mul_f64 v[6:7], v[6:7], v[75:76]
	v_mul_f64 v[75:76], v[2:3], v[146:147]
	;; [unrolled: 1-line block ×3, first 2 shown]
	v_fma_f64 v[2:3], v[2:3], v[144:145], v[58:59]
	v_fma_f64 v[4:5], v[4:5], v[69:70], v[156:157]
	;; [unrolled: 1-line block ×4, first 2 shown]
	v_fma_f64 v[58:59], v[178:179], v[96:97], -v[98:99]
	v_fma_f64 v[60:61], v[164:165], v[60:61], -v[62:63]
	;; [unrolled: 1-line block ×6, first 2 shown]
	v_add_f64 v[16:17], v[37:38], -v[16:17]
	v_add_f64 v[18:19], v[39:40], -v[18:19]
	;; [unrolled: 1-line block ×3, first 2 shown]
	v_fma_f64 v[46:47], v[168:169], v[69:70], -v[46:47]
	v_fma_f64 v[33:34], v[33:34], v[152:153], v[71:72]
	v_add_f64 v[10:11], v[22:23], -v[10:11]
	v_add_f64 v[69:70], v[29:30], -v[77:78]
	v_fma_f64 v[6:7], v[170:171], v[73:74], -v[6:7]
	v_fma_f64 v[71:72], v[174:175], v[144:145], -v[75:76]
	;; [unrolled: 1-line block ×4, first 2 shown]
	v_add_f64 v[2:3], v[35:36], -v[2:3]
	v_add_f64 v[4:5], v[24:25], -v[4:5]
	;; [unrolled: 1-line block ×9, first 2 shown]
	v_fma_f64 v[37:38], v[37:38], 2.0, -v[16:17]
	v_fma_f64 v[39:40], v[39:40], 2.0, -v[18:19]
	;; [unrolled: 1-line block ×3, first 2 shown]
	v_add_f64 v[46:47], v[50:51], -v[46:47]
	v_add_f64 v[14:15], v[33:34], -v[14:15]
	v_fma_f64 v[22:23], v[22:23], 2.0, -v[10:11]
	v_fma_f64 v[29:30], v[29:30], 2.0, -v[69:70]
	v_add_f64 v[6:7], v[194:195], -v[6:7]
	v_add_f64 v[71:72], v[58:59], -v[71:72]
	;; [unrolled: 1-line block ×4, first 2 shown]
	v_fma_f64 v[35:36], v[35:36], 2.0, -v[2:3]
	v_fma_f64 v[24:25], v[24:25], 2.0, -v[4:5]
	;; [unrolled: 1-line block ×5, first 2 shown]
	v_add_f64 v[26:27], v[60:61], -v[2:3]
	v_add_f64 v[140:141], v[65:66], -v[16:17]
	v_fma_f64 v[54:55], v[54:55], 2.0, -v[56:57]
	v_add_f64 v[56:57], v[0:1], v[56:57]
	v_fma_f64 v[50:51], v[50:51], 2.0, -v[46:47]
	v_fma_f64 v[33:34], v[33:34], 2.0, -v[14:15]
	v_add_f64 v[37:38], v[22:23], -v[37:38]
	v_add_f64 v[142:143], v[46:47], -v[18:19]
	;; [unrolled: 1-line block ×3, first 2 shown]
	v_add_f64 v[73:74], v[8:9], v[71:72]
	v_add_f64 v[77:78], v[10:11], v[44:45]
	v_fma_f64 v[58:59], v[58:59], 2.0, -v[71:72]
	v_add_f64 v[71:72], v[4:5], v[48:49]
	v_fma_f64 v[43:44], v[75:76], 2.0, -v[44:45]
	v_fma_f64 v[48:49], v[62:63], 2.0, -v[48:49]
	;; [unrolled: 1-line block ×6, first 2 shown]
	v_add_f64 v[35:36], v[20:21], -v[35:36]
	v_add_f64 v[39:40], v[24:25], -v[39:40]
	v_add_f64 v[41:42], v[29:30], -v[41:42]
	v_add_f64 v[52:53], v[69:70], v[52:53]
	v_add_f64 v[146:147], v[67:68], -v[14:15]
	v_fma_f64 v[0:1], v[0:1], 2.0, -v[56:57]
	v_add_f64 v[33:34], v[31:32], -v[33:34]
	v_fma_f64 v[12:13], v[22:23], 2.0, -v[37:38]
	v_fma_f64 v[22:23], v[60:61], 2.0, -v[26:27]
	;; [unrolled: 1-line block ×4, first 2 shown]
	v_add_f64 v[58:59], v[98:99], -v[58:59]
	v_fma_f64 v[4:5], v[4:5], 2.0, -v[71:72]
	v_add_f64 v[48:49], v[50:51], -v[48:49]
	v_add_f64 v[43:44], v[75:76], -v[43:44]
	;; [unrolled: 1-line block ×4, first 2 shown]
	v_fma_f64 v[10:11], v[20:21], 2.0, -v[35:36]
	v_fma_f64 v[16:17], v[24:25], 2.0, -v[39:40]
	;; [unrolled: 1-line block ×4, first 2 shown]
	v_add_nc_u32_e32 v69, 0x400, v131
	v_fma_f64 v[24:25], v[65:66], 2.0, -v[140:141]
	v_fma_f64 v[29:30], v[46:47], 2.0, -v[142:143]
	;; [unrolled: 1-line block ×5, first 2 shown]
	ds_write2_b64 v131, v[35:36], v[73:74] offset0:80 offset1:120
	ds_write2_b64 v131, v[10:11], v[2:3] offset1:40
	ds_write2_b64 v132, v[12:13], v[8:9] offset1:40
	ds_write2_b64 v132, v[37:38], v[77:78] offset0:80 offset1:120
	ds_write2_b64 v83, v[16:17], v[4:5] offset1:40
	ds_write2_b64 v83, v[39:40], v[71:72] offset0:80 offset1:120
	ds_write2_b64 v131, v[18:19], v[20:21] offset0:168 offset1:184
	;; [unrolled: 1-line block ×5, first 2 shown]
	v_fma_f64 v[35:36], v[98:99], 2.0, -v[58:59]
	v_fma_f64 v[60:61], v[75:76], 2.0, -v[43:44]
	;; [unrolled: 1-line block ×4, first 2 shown]
	s_waitcnt lgkmcnt(0)
	s_barrier
	buffer_gl0_inv
	ds_read_b64 v[101:102], v129
	ds_read2_b64 v[0:3], v131 offset0:160 offset1:176
	ds_read_b64 v[99:100], v134
	ds_read_b64 v[74:75], v133
	;; [unrolled: 1-line block ×9, first 2 shown]
	ds_read2_b64 v[12:15], v131 offset0:192 offset1:208
	ds_read2_b64 v[8:11], v131 offset0:224 offset1:240
	ds_read2_b64 v[16:19], v64 offset1:16
	ds_read2_b64 v[4:7], v64 offset0:32 offset1:48
	v_fma_f64 v[50:51], v[50:51], 2.0, -v[48:49]
	s_waitcnt lgkmcnt(0)
	s_barrier
	buffer_gl0_inv
	ds_write2_b64 v131, v[35:36], v[22:23] offset1:40
	ds_write2_b64 v131, v[58:59], v[26:27] offset0:80 offset1:120
	ds_write2_b64 v132, v[60:61], v[24:25] offset1:40
	ds_write2_b64 v132, v[43:44], v[140:141] offset0:80 offset1:120
	;; [unrolled: 2-line block ×3, first 2 shown]
	ds_write2_b64 v131, v[65:66], v[67:68] offset0:168 offset1:184
	ds_write2_b64 v131, v[31:32], v[45:46] offset0:208 offset1:224
	ds_write2_b64 v69, v[62:63], v[54:55] offset0:120 offset1:136
	ds_write2_b64 v64, v[144:145], v[146:147] offset0:32 offset1:48
	s_waitcnt lgkmcnt(0)
	s_barrier
	buffer_gl0_inv
	s_and_saveexec_b32 s0, vcc_lo
	s_cbranch_execz .LBB0_15
; %bb.14:
	v_mov_b32_e32 v94, v28
	v_mov_b32_e32 v92, v28
	v_mov_b32_e32 v96, v28
	v_mov_b32_e32 v88, v28
	v_mov_b32_e32 v83, v28
	v_lshlrev_b64 v[20:21], 4, v[93:94]
	v_lshlrev_b64 v[24:25], 4, v[91:92]
	;; [unrolled: 1-line block ×4, first 2 shown]
	v_mov_b32_e32 v87, v28
	v_lshlrev_b64 v[40:41], 4, v[82:83]
	v_add_co_u32 v20, vcc_lo, s8, v20
	v_add_co_ci_u32_e32 v21, vcc_lo, s9, v21, vcc_lo
	v_add_co_u32 v24, vcc_lo, s8, v24
	v_add_co_ci_u32_e32 v25, vcc_lo, s9, v25, vcc_lo
	;; [unrolled: 2-line block ×5, first 2 shown]
	v_add_co_u32 v31, vcc_lo, s8, v31
	s_clause 0x1
	global_load_dwordx4 v[24:27], v[20:21], off offset:352
	global_load_dwordx4 v[20:23], v[29:30], off offset:352
	v_add_co_ci_u32_e32 v32, vcc_lo, s9, v32, vcc_lo
	v_lshlrev_b64 v[29:30], 4, v[86:87]
	v_add_co_u32 v31, vcc_lo, 0x800, v31
	v_mov_b32_e32 v86, v28
	v_add_co_ci_u32_e32 v32, vcc_lo, 0, v32, vcc_lo
	v_add_co_u32 v33, vcc_lo, s8, v29
	v_add_co_ci_u32_e32 v34, vcc_lo, s9, v30, vcc_lo
	v_lshlrev_b64 v[29:30], 4, v[85:86]
	v_add_co_u32 v33, vcc_lo, 0x800, v33
	v_mov_b32_e32 v85, v28
	v_add_co_ci_u32_e32 v34, vcc_lo, 0, v34, vcc_lo
	v_add_co_u32 v29, vcc_lo, s8, v29
	v_add_co_ci_u32_e32 v30, vcc_lo, s9, v30, vcc_lo
	v_lshlrev_b64 v[38:39], 4, v[84:85]
	v_add_co_u32 v44, vcc_lo, 0x800, v29
	v_add_co_ci_u32_e32 v45, vcc_lo, 0, v30, vcc_lo
	v_mov_b32_e32 v90, v28
	v_add_co_u32 v42, vcc_lo, s8, v38
	v_lshlrev_b32_e32 v38, 4, v115
	v_add_co_ci_u32_e32 v43, vcc_lo, s9, v39, vcc_lo
	v_add_co_u32 v39, vcc_lo, s8, v40
	v_add_co_ci_u32_e32 v40, vcc_lo, s9, v41, vcc_lo
	v_add_co_u32 v41, s0, s8, v38
	v_add_co_ci_u32_e64 v47, null, s9, 0, s0
	v_add_co_u32 v38, vcc_lo, 0x800, v39
	v_add_co_ci_u32_e32 v39, vcc_lo, 0, v40, vcc_lo
	v_lshlrev_b64 v[36:37], 4, v[89:90]
	v_add_co_u32 v46, vcc_lo, 0x800, v41
	v_add_co_ci_u32_e32 v47, vcc_lo, 0, v47, vcc_lo
	v_add_co_u32 v52, vcc_lo, 0x800, v42
	v_add_co_ci_u32_e32 v53, vcc_lo, 0, v43, vcc_lo
	s_clause 0x3
	global_load_dwordx4 v[28:31], v[31:32], off offset:352
	global_load_dwordx4 v[32:35], v[33:34], off offset:352
	;; [unrolled: 1-line block ×4, first 2 shown]
	v_add_co_u32 v38, vcc_lo, s8, v36
	v_add_co_ci_u32_e32 v39, vcc_lo, s9, v37, vcc_lo
	v_add_co_u32 v36, vcc_lo, 0x800, v54
	v_add_co_ci_u32_e32 v37, vcc_lo, 0, v55, vcc_lo
	s_clause 0x1
	global_load_dwordx4 v[48:51], v[44:45], off offset:352
	global_load_dwordx4 v[56:59], v[52:53], off offset:352
	v_add_co_u32 v38, vcc_lo, 0x800, v38
	v_add_co_ci_u32_e32 v39, vcc_lo, 0, v39, vcc_lo
	s_clause 0x1
	global_load_dwordx4 v[44:47], v[36:37], off offset:352
	global_load_dwordx4 v[36:39], v[38:39], off offset:352
	ds_read2_b64 v[52:55], v64 offset0:32 offset1:48
	ds_read2_b64 v[68:71], v64 offset1:16
	ds_read2_b64 v[64:67], v131 offset0:224 offset1:240
	ds_read_b64 v[82:83], v139
	ds_read_b64 v[84:85], v138
	v_mad_u64_u32 v[138:139], null, s2, v126, 0
	v_mad_u64_u32 v[142:143], null, s2, v128, 0
	v_mad_u64_u32 v[146:147], null, s2, v124, 0
	v_mad_u64_u32 v[140:141], null, s2, v114, 0
	v_mad_u64_u32 v[144:145], null, s2, v116, 0
	v_mad_u64_u32 v[148:149], null, s2, v117, 0
	v_mad_u64_u32 v[150:151], null, s2, v127, 0
	v_mad_u64_u32 v[152:153], null, s2, v118, 0
	v_mad_u64_u32 v[156:157], null, s2, v110, 0
	ds_read2_b64 v[86:89], v131 offset0:192 offset1:208
	ds_read_b64 v[176:177], v137
	ds_read_b64 v[136:137], v136
	;; [unrolled: 1-line block ×4, first 2 shown]
	ds_read2_b64 v[90:93], v131 offset0:160 offset1:176
	ds_read_b64 v[180:181], v133
	ds_read_b64 v[131:132], v132
	;; [unrolled: 1-line block ×4, first 2 shown]
	v_mad_u64_u32 v[94:95], null, s2, v115, 0
	v_mad_u64_u32 v[154:155], null, s2, v122, 0
	;; [unrolled: 1-line block ×6, first 2 shown]
	v_mov_b32_e32 v96, v139
	v_mad_u64_u32 v[166:167], null, s2, v123, 0
	v_mov_b32_e32 v139, v143
	v_mad_u64_u32 v[168:169], null, s2, v112, 0
	v_mov_b32_e32 v143, v147
	v_mov_b32_e32 v133, v141
	;; [unrolled: 1-line block ×10, first 2 shown]
	v_mad_u64_u32 v[184:185], null, s3, v115, v[95:96]
	v_mad_u64_u32 v[170:171], null, s2, v119, 0
	v_mov_b32_e32 v157, v161
	v_mad_u64_u32 v[185:186], null, s3, v126, v[96:97]
	v_mad_u64_u32 v[172:173], null, s2, v113, 0
	v_mov_b32_e32 v161, v165
	v_mad_u64_u32 v[186:187], null, s3, v128, v[139:140]
	v_mad_u64_u32 v[174:175], null, s2, v121, 0
	;; [unrolled: 1-line block ×3, first 2 shown]
	v_mov_b32_e32 v163, v167
	v_mad_u64_u32 v[126:127], null, s3, v127, v[147:148]
	v_mad_u64_u32 v[188:189], null, s3, v110, v[153:154]
	;; [unrolled: 1-line block ×4, first 2 shown]
	v_mov_b32_e32 v165, v169
	s_waitcnt lgkmcnt(5)
	v_mad_u64_u32 v[114:115], null, s3, v114, v[133:134]
	v_mad_u64_u32 v[109:110], null, s3, v109, v[157:158]
	;; [unrolled: 1-line block ×4, first 2 shown]
	v_mov_b32_e32 v167, v171
	v_mad_u64_u32 v[122:123], null, s3, v123, v[163:164]
	v_mov_b32_e32 v169, v173
	v_mov_b32_e32 v171, v175
	v_mad_u64_u32 v[116:117], null, s3, v117, v[145:146]
	v_mad_u64_u32 v[111:112], null, s3, v112, v[165:166]
	v_mad_u64_u32 v[117:118], null, s3, v118, v[149:150]
	v_mad_u64_u32 v[124:125], null, s3, v125, v[155:156]
	v_mov_b32_e32 v143, v186
	v_mov_b32_e32 v155, v127
	;; [unrolled: 1-line block ×4, first 2 shown]
	v_mad_u64_u32 v[118:119], null, s3, v119, v[167:168]
	v_mad_u64_u32 v[112:113], null, s3, v113, v[169:170]
	v_mov_b32_e32 v145, v115
	v_mov_b32_e32 v165, v110
	v_mad_u64_u32 v[119:120], null, s3, v121, v[171:172]
	v_mov_b32_e32 v147, v187
	v_mov_b32_e32 v167, v122
	;; [unrolled: 1-line block ×4, first 2 shown]
	v_lshlrev_b64 v[113:114], 4, v[142:143]
	v_lshlrev_b64 v[125:126], 4, v[154:155]
	;; [unrolled: 1-line block ×4, first 2 shown]
	v_mov_b32_e32 v149, v116
	v_mov_b32_e32 v169, v111
	v_lshlrev_b64 v[115:116], 4, v[144:145]
	v_lshlrev_b64 v[144:145], 4, v[164:165]
	v_mov_b32_e32 v161, v109
	v_mov_b32_e32 v153, v117
	;; [unrolled: 1-line block ×3, first 2 shown]
	v_lshlrev_b64 v[117:118], 4, v[146:147]
	v_lshlrev_b64 v[146:147], 4, v[166:167]
	v_mov_b32_e32 v139, v185
	v_mov_b32_e32 v159, v124
	v_mov_b32_e32 v173, v112
	v_mov_b32_e32 v175, v119
	v_lshlrev_b64 v[119:120], 4, v[148:149]
	v_lshlrev_b64 v[148:149], 4, v[168:169]
	;; [unrolled: 1-line block ×10, first 2 shown]
	v_mov_b32_e32 v95, v184
	v_add_co_u32 v80, vcc_lo, s12, v80
	v_add_co_ci_u32_e32 v81, vcc_lo, s13, v81, vcc_lo
	v_lshlrev_b64 v[94:95], 4, v[94:95]
	v_add_co_u32 v94, vcc_lo, v80, v94
	v_add_co_ci_u32_e32 v95, vcc_lo, v81, v95, vcc_lo
	v_add_co_u32 v109, vcc_lo, v80, v109
	v_add_co_ci_u32_e32 v110, vcc_lo, v81, v110, vcc_lo
	;; [unrolled: 2-line block ×14, first 2 shown]
	s_waitcnt vmcnt(9)
	v_mul_f64 v[154:155], v[18:19], v[26:27]
	v_mul_f64 v[26:27], v[70:71], v[26:27]
	s_waitcnt vmcnt(8)
	v_mul_f64 v[156:157], v[16:17], v[22:23]
	v_mul_f64 v[22:23], v[68:69], v[22:23]
	v_fma_f64 v[70:71], v[70:71], v[24:25], -v[154:155]
	v_fma_f64 v[18:19], v[18:19], v[24:25], v[26:27]
	v_fma_f64 v[24:25], v[68:69], v[20:21], -v[156:157]
	v_fma_f64 v[68:69], v[16:17], v[20:21], v[22:23]
	s_waitcnt vmcnt(7)
	v_mul_f64 v[158:159], v[10:11], v[30:31]
	s_waitcnt vmcnt(5)
	v_mul_f64 v[164:165], v[2:3], v[42:43]
	;; [unrolled: 2-line block ×3, first 2 shown]
	s_waitcnt lgkmcnt(4)
	v_mul_f64 v[62:63], v[90:91], v[62:63]
	v_mul_f64 v[42:43], v[92:93], v[42:43]
	;; [unrolled: 1-line block ×5, first 2 shown]
	s_waitcnt vmcnt(3)
	v_mul_f64 v[168:169], v[14:15], v[50:51]
	s_waitcnt vmcnt(2)
	v_mul_f64 v[166:167], v[12:13], v[58:59]
	v_mul_f64 v[58:59], v[86:87], v[58:59]
	;; [unrolled: 1-line block ×3, first 2 shown]
	s_waitcnt vmcnt(1)
	v_mul_f64 v[170:171], v[6:7], v[46:47]
	v_mul_f64 v[46:47], v[54:55], v[46:47]
	s_waitcnt vmcnt(0)
	v_mul_f64 v[172:173], v[4:5], v[38:39]
	v_mul_f64 v[38:39], v[52:53], v[38:39]
	v_fma_f64 v[66:67], v[66:67], v[28:29], -v[158:159]
	v_fma_f64 v[22:23], v[92:93], v[40:41], -v[164:165]
	;; [unrolled: 1-line block ×3, first 2 shown]
	v_fma_f64 v[20:21], v[0:1], v[60:61], v[62:63]
	v_fma_f64 v[26:27], v[2:3], v[40:41], v[42:43]
	v_add_f64 v[0:1], v[97:98], -v[18:19]
	v_add_f64 v[2:3], v[178:179], -v[70:71]
	v_fma_f64 v[28:29], v[10:11], v[28:29], v[30:31]
	v_fma_f64 v[40:41], v[86:87], v[56:57], -v[166:167]
	v_fma_f64 v[42:43], v[12:13], v[56:57], v[58:59]
	v_fma_f64 v[56:57], v[88:89], v[48:49], -v[168:169]
	;; [unrolled: 2-line block ×5, first 2 shown]
	v_fma_f64 v[36:37], v[4:5], v[36:37], v[38:39]
	s_waitcnt lgkmcnt(3)
	v_add_f64 v[6:7], v[180:181], -v[24:25]
	s_waitcnt lgkmcnt(1)
	v_add_f64 v[30:31], v[182:183], -v[66:67]
	v_add_f64 v[14:15], v[131:132], -v[22:23]
	s_waitcnt lgkmcnt(0)
	v_add_f64 v[10:11], v[129:130], -v[16:17]
	v_add_f64 v[8:9], v[101:102], -v[20:21]
	;; [unrolled: 1-line block ×4, first 2 shown]
	v_add_co_u32 v86, vcc_lo, v80, v144
	v_add_f64 v[28:29], v[78:79], -v[28:29]
	v_add_co_ci_u32_e32 v87, vcc_lo, v81, v145, vcc_lo
	v_add_f64 v[18:19], v[134:135], -v[40:41]
	v_add_f64 v[16:17], v[99:100], -v[42:43]
	;; [unrolled: 1-line block ×10, first 2 shown]
	v_fma_f64 v[70:71], v[180:181], 2.0, -v[6:7]
	v_fma_f64 v[66:67], v[182:183], 2.0, -v[30:31]
	;; [unrolled: 1-line block ×10, first 2 shown]
	v_add_co_u32 v88, vcc_lo, v80, v146
	v_fma_f64 v[54:55], v[134:135], 2.0, -v[18:19]
	v_fma_f64 v[52:53], v[99:100], 2.0, -v[16:17]
	;; [unrolled: 1-line block ×10, first 2 shown]
	v_add_co_ci_u32_e32 v89, vcc_lo, v81, v147, vcc_lo
	v_add_co_u32 v84, vcc_lo, v80, v148
	v_add_co_ci_u32_e32 v85, vcc_lo, v81, v149, vcc_lo
	global_store_dwordx4 v[94:95], v[44:47], off
	global_store_dwordx4 v[109:110], v[8:11], off
	global_store_dwordx4 v[111:112], v[48:51], off
	global_store_dwordx4 v[113:114], v[12:15], off
	global_store_dwordx4 v[115:116], v[52:55], off
	global_store_dwordx4 v[117:118], v[16:19], off
	global_store_dwordx4 v[119:120], v[56:59], off
	global_store_dwordx4 v[121:122], v[20:23], off
	global_store_dwordx4 v[123:124], v[60:63], off
	global_store_dwordx4 v[125:126], v[24:27], off
	global_store_dwordx4 v[127:128], v[64:67], off
	global_store_dwordx4 v[138:139], v[28:31], off
	global_store_dwordx4 v[140:141], v[68:71], off
	global_store_dwordx4 v[142:143], v[4:7], off
	global_store_dwordx4 v[86:87], v[40:43], off
	v_add_co_u32 v4, vcc_lo, v80, v150
	v_lshlrev_b64 v[6:7], 4, v[174:175]
	v_add_co_ci_u32_e32 v5, vcc_lo, v81, v151, vcc_lo
	v_add_co_u32 v8, vcc_lo, v80, v152
	v_add_co_ci_u32_e32 v9, vcc_lo, v81, v153, vcc_lo
	v_add_co_u32 v6, vcc_lo, v80, v6
	v_add_co_ci_u32_e32 v7, vcc_lo, v81, v7, vcc_lo
	global_store_dwordx4 v[88:89], v[0:3], off
	global_store_dwordx4 v[84:85], v[72:75], off
	;; [unrolled: 1-line block ×5, first 2 shown]
.LBB0_15:
	s_endpgm
	.section	.rodata,"a",@progbits
	.p2align	6, 0x0
	.amdhsa_kernel fft_rtc_back_len320_factors_10_4_4_2_wgs_64_tpt_16_halfLds_dp_ip_CI_sbrr_dirReg
		.amdhsa_group_segment_fixed_size 0
		.amdhsa_private_segment_fixed_size 0
		.amdhsa_kernarg_size 88
		.amdhsa_user_sgpr_count 6
		.amdhsa_user_sgpr_private_segment_buffer 1
		.amdhsa_user_sgpr_dispatch_ptr 0
		.amdhsa_user_sgpr_queue_ptr 0
		.amdhsa_user_sgpr_kernarg_segment_ptr 1
		.amdhsa_user_sgpr_dispatch_id 0
		.amdhsa_user_sgpr_flat_scratch_init 0
		.amdhsa_user_sgpr_private_segment_size 0
		.amdhsa_wavefront_size32 1
		.amdhsa_uses_dynamic_stack 0
		.amdhsa_system_sgpr_private_segment_wavefront_offset 0
		.amdhsa_system_sgpr_workgroup_id_x 1
		.amdhsa_system_sgpr_workgroup_id_y 0
		.amdhsa_system_sgpr_workgroup_id_z 0
		.amdhsa_system_sgpr_workgroup_info 0
		.amdhsa_system_vgpr_workitem_id 0
		.amdhsa_next_free_vgpr 202
		.amdhsa_next_free_sgpr 23
		.amdhsa_reserve_vcc 1
		.amdhsa_reserve_flat_scratch 0
		.amdhsa_float_round_mode_32 0
		.amdhsa_float_round_mode_16_64 0
		.amdhsa_float_denorm_mode_32 3
		.amdhsa_float_denorm_mode_16_64 3
		.amdhsa_dx10_clamp 1
		.amdhsa_ieee_mode 1
		.amdhsa_fp16_overflow 0
		.amdhsa_workgroup_processor_mode 1
		.amdhsa_memory_ordered 1
		.amdhsa_forward_progress 0
		.amdhsa_shared_vgpr_count 0
		.amdhsa_exception_fp_ieee_invalid_op 0
		.amdhsa_exception_fp_denorm_src 0
		.amdhsa_exception_fp_ieee_div_zero 0
		.amdhsa_exception_fp_ieee_overflow 0
		.amdhsa_exception_fp_ieee_underflow 0
		.amdhsa_exception_fp_ieee_inexact 0
		.amdhsa_exception_int_div_zero 0
	.end_amdhsa_kernel
	.text
.Lfunc_end0:
	.size	fft_rtc_back_len320_factors_10_4_4_2_wgs_64_tpt_16_halfLds_dp_ip_CI_sbrr_dirReg, .Lfunc_end0-fft_rtc_back_len320_factors_10_4_4_2_wgs_64_tpt_16_halfLds_dp_ip_CI_sbrr_dirReg
                                        ; -- End function
	.section	.AMDGPU.csdata,"",@progbits
; Kernel info:
; codeLenInByte = 11916
; NumSgprs: 25
; NumVgprs: 202
; ScratchSize: 0
; MemoryBound: 1
; FloatMode: 240
; IeeeMode: 1
; LDSByteSize: 0 bytes/workgroup (compile time only)
; SGPRBlocks: 3
; VGPRBlocks: 25
; NumSGPRsForWavesPerEU: 25
; NumVGPRsForWavesPerEU: 202
; Occupancy: 4
; WaveLimiterHint : 1
; COMPUTE_PGM_RSRC2:SCRATCH_EN: 0
; COMPUTE_PGM_RSRC2:USER_SGPR: 6
; COMPUTE_PGM_RSRC2:TRAP_HANDLER: 0
; COMPUTE_PGM_RSRC2:TGID_X_EN: 1
; COMPUTE_PGM_RSRC2:TGID_Y_EN: 0
; COMPUTE_PGM_RSRC2:TGID_Z_EN: 0
; COMPUTE_PGM_RSRC2:TIDIG_COMP_CNT: 0
	.text
	.p2alignl 6, 3214868480
	.fill 48, 4, 3214868480
	.type	__hip_cuid_b56031cbb524dfff,@object ; @__hip_cuid_b56031cbb524dfff
	.section	.bss,"aw",@nobits
	.globl	__hip_cuid_b56031cbb524dfff
__hip_cuid_b56031cbb524dfff:
	.byte	0                               ; 0x0
	.size	__hip_cuid_b56031cbb524dfff, 1

	.ident	"AMD clang version 19.0.0git (https://github.com/RadeonOpenCompute/llvm-project roc-6.4.0 25133 c7fe45cf4b819c5991fe208aaa96edf142730f1d)"
	.section	".note.GNU-stack","",@progbits
	.addrsig
	.addrsig_sym __hip_cuid_b56031cbb524dfff
	.amdgpu_metadata
---
amdhsa.kernels:
  - .args:
      - .actual_access:  read_only
        .address_space:  global
        .offset:         0
        .size:           8
        .value_kind:     global_buffer
      - .offset:         8
        .size:           8
        .value_kind:     by_value
      - .actual_access:  read_only
        .address_space:  global
        .offset:         16
        .size:           8
        .value_kind:     global_buffer
      - .actual_access:  read_only
        .address_space:  global
        .offset:         24
        .size:           8
        .value_kind:     global_buffer
      - .offset:         32
        .size:           8
        .value_kind:     by_value
      - .actual_access:  read_only
        .address_space:  global
        .offset:         40
        .size:           8
        .value_kind:     global_buffer
      - .actual_access:  read_only
        .address_space:  global
        .offset:         48
        .size:           8
        .value_kind:     global_buffer
      - .offset:         56
        .size:           4
        .value_kind:     by_value
      - .actual_access:  read_only
        .address_space:  global
        .offset:         64
        .size:           8
        .value_kind:     global_buffer
      - .actual_access:  read_only
        .address_space:  global
        .offset:         72
        .size:           8
        .value_kind:     global_buffer
      - .address_space:  global
        .offset:         80
        .size:           8
        .value_kind:     global_buffer
    .group_segment_fixed_size: 0
    .kernarg_segment_align: 8
    .kernarg_segment_size: 88
    .language:       OpenCL C
    .language_version:
      - 2
      - 0
    .max_flat_workgroup_size: 64
    .name:           fft_rtc_back_len320_factors_10_4_4_2_wgs_64_tpt_16_halfLds_dp_ip_CI_sbrr_dirReg
    .private_segment_fixed_size: 0
    .sgpr_count:     25
    .sgpr_spill_count: 0
    .symbol:         fft_rtc_back_len320_factors_10_4_4_2_wgs_64_tpt_16_halfLds_dp_ip_CI_sbrr_dirReg.kd
    .uniform_work_group_size: 1
    .uses_dynamic_stack: false
    .vgpr_count:     202
    .vgpr_spill_count: 0
    .wavefront_size: 32
    .workgroup_processor_mode: 1
amdhsa.target:   amdgcn-amd-amdhsa--gfx1030
amdhsa.version:
  - 1
  - 2
...

	.end_amdgpu_metadata
